;; amdgpu-corpus repo=ROCm/rocFFT kind=compiled arch=gfx906 opt=O3
	.text
	.amdgcn_target "amdgcn-amd-amdhsa--gfx906"
	.amdhsa_code_object_version 6
	.protected	fft_rtc_back_len351_factors_13_3_9_wgs_117_tpt_39_half_op_CI_CI_unitstride_sbrr_dirReg ; -- Begin function fft_rtc_back_len351_factors_13_3_9_wgs_117_tpt_39_half_op_CI_CI_unitstride_sbrr_dirReg
	.globl	fft_rtc_back_len351_factors_13_3_9_wgs_117_tpt_39_half_op_CI_CI_unitstride_sbrr_dirReg
	.p2align	8
	.type	fft_rtc_back_len351_factors_13_3_9_wgs_117_tpt_39_half_op_CI_CI_unitstride_sbrr_dirReg,@function
fft_rtc_back_len351_factors_13_3_9_wgs_117_tpt_39_half_op_CI_CI_unitstride_sbrr_dirReg: ; @fft_rtc_back_len351_factors_13_3_9_wgs_117_tpt_39_half_op_CI_CI_unitstride_sbrr_dirReg
; %bb.0:
	v_mul_u32_u24_e32 v1, 0x691, v0
	s_load_dwordx4 s[8:11], s[4:5], 0x58
	s_load_dwordx4 s[12:15], s[4:5], 0x0
	;; [unrolled: 1-line block ×3, first 2 shown]
	v_lshrrev_b32_e32 v1, 16, v1
	v_mad_u64_u32 v[8:9], s[0:1], s6, 3, v[1:2]
	v_mov_b32_e32 v3, 0
	s_waitcnt lgkmcnt(0)
	v_cmp_lt_u64_e64 s[0:1], s[14:15], 2
	v_mov_b32_e32 v10, 0
	v_mov_b32_e32 v9, v3
	;; [unrolled: 1-line block ×5, first 2 shown]
	s_and_b64 vcc, exec, s[0:1]
	v_mov_b32_e32 v2, v11
	v_mov_b32_e32 v5, v9
	s_cbranch_vccnz .LBB0_8
; %bb.1:
	s_load_dwordx2 s[0:1], s[4:5], 0x10
	s_add_u32 s2, s18, 8
	s_addc_u32 s3, s19, 0
	s_add_u32 s6, s16, 8
	s_addc_u32 s7, s17, 0
	v_mov_b32_e32 v10, 0
	s_waitcnt lgkmcnt(0)
	s_add_u32 s20, s0, 8
	v_mov_b32_e32 v11, 0
	v_mov_b32_e32 v1, v10
	;; [unrolled: 1-line block ×3, first 2 shown]
	s_addc_u32 s21, s1, 0
	s_mov_b64 s[22:23], 1
	v_mov_b32_e32 v2, v11
	v_mov_b32_e32 v7, v9
.LBB0_2:                                ; =>This Inner Loop Header: Depth=1
	s_load_dwordx2 s[24:25], s[20:21], 0x0
	s_waitcnt lgkmcnt(0)
	v_or_b32_e32 v4, s25, v7
	v_cmp_ne_u64_e32 vcc, 0, v[3:4]
                                        ; implicit-def: $vgpr4_vgpr5
	s_and_saveexec_b64 s[0:1], vcc
	s_xor_b64 s[26:27], exec, s[0:1]
	s_cbranch_execz .LBB0_4
; %bb.3:                                ;   in Loop: Header=BB0_2 Depth=1
	v_cvt_f32_u32_e32 v4, s24
	v_cvt_f32_u32_e32 v5, s25
	s_sub_u32 s0, 0, s24
	s_subb_u32 s1, 0, s25
	v_mac_f32_e32 v4, 0x4f800000, v5
	v_rcp_f32_e32 v4, v4
	v_mul_f32_e32 v4, 0x5f7ffffc, v4
	v_mul_f32_e32 v5, 0x2f800000, v4
	v_trunc_f32_e32 v5, v5
	v_mac_f32_e32 v4, 0xcf800000, v5
	v_cvt_u32_f32_e32 v5, v5
	v_cvt_u32_f32_e32 v4, v4
	v_mul_lo_u32 v9, s0, v5
	v_mul_hi_u32 v12, s0, v4
	v_mul_lo_u32 v14, s1, v4
	v_mul_lo_u32 v13, s0, v4
	v_add_u32_e32 v9, v12, v9
	v_add_u32_e32 v9, v9, v14
	v_mul_hi_u32 v12, v4, v13
	v_mul_lo_u32 v14, v4, v9
	v_mul_hi_u32 v16, v4, v9
	v_mul_hi_u32 v15, v5, v13
	v_mul_lo_u32 v13, v5, v13
	v_mul_hi_u32 v17, v5, v9
	v_add_co_u32_e32 v12, vcc, v12, v14
	v_addc_co_u32_e32 v14, vcc, 0, v16, vcc
	v_mul_lo_u32 v9, v5, v9
	v_add_co_u32_e32 v12, vcc, v12, v13
	v_addc_co_u32_e32 v12, vcc, v14, v15, vcc
	v_addc_co_u32_e32 v13, vcc, 0, v17, vcc
	v_add_co_u32_e32 v9, vcc, v12, v9
	v_addc_co_u32_e32 v12, vcc, 0, v13, vcc
	v_add_co_u32_e32 v4, vcc, v4, v9
	v_addc_co_u32_e32 v5, vcc, v5, v12, vcc
	v_mul_lo_u32 v9, s0, v5
	v_mul_hi_u32 v12, s0, v4
	v_mul_lo_u32 v13, s1, v4
	v_mul_lo_u32 v14, s0, v4
	v_add_u32_e32 v9, v12, v9
	v_add_u32_e32 v9, v9, v13
	v_mul_lo_u32 v15, v4, v9
	v_mul_hi_u32 v16, v4, v14
	v_mul_hi_u32 v17, v4, v9
	;; [unrolled: 1-line block ×3, first 2 shown]
	v_mul_lo_u32 v14, v5, v14
	v_mul_hi_u32 v12, v5, v9
	v_add_co_u32_e32 v15, vcc, v16, v15
	v_addc_co_u32_e32 v16, vcc, 0, v17, vcc
	v_mul_lo_u32 v9, v5, v9
	v_add_co_u32_e32 v14, vcc, v15, v14
	v_addc_co_u32_e32 v13, vcc, v16, v13, vcc
	v_addc_co_u32_e32 v12, vcc, 0, v12, vcc
	v_add_co_u32_e32 v9, vcc, v13, v9
	v_addc_co_u32_e32 v12, vcc, 0, v12, vcc
	v_add_co_u32_e32 v9, vcc, v4, v9
	v_addc_co_u32_e32 v12, vcc, v5, v12, vcc
	v_mad_u64_u32 v[4:5], s[0:1], v6, v12, 0
	v_mul_hi_u32 v13, v6, v9
	v_add_co_u32_e32 v14, vcc, v13, v4
	v_addc_co_u32_e32 v15, vcc, 0, v5, vcc
	v_mad_u64_u32 v[4:5], s[0:1], v7, v9, 0
	v_mad_u64_u32 v[12:13], s[0:1], v7, v12, 0
	v_add_co_u32_e32 v4, vcc, v14, v4
	v_addc_co_u32_e32 v4, vcc, v15, v5, vcc
	v_addc_co_u32_e32 v5, vcc, 0, v13, vcc
	v_add_co_u32_e32 v9, vcc, v4, v12
	v_addc_co_u32_e32 v12, vcc, 0, v5, vcc
	v_mul_lo_u32 v13, s25, v9
	v_mul_lo_u32 v14, s24, v12
	v_mad_u64_u32 v[4:5], s[0:1], s24, v9, 0
	v_add3_u32 v5, v5, v14, v13
	v_sub_u32_e32 v13, v7, v5
	v_mov_b32_e32 v14, s25
	v_sub_co_u32_e32 v4, vcc, v6, v4
	v_subb_co_u32_e64 v13, s[0:1], v13, v14, vcc
	v_subrev_co_u32_e64 v14, s[0:1], s24, v4
	v_subbrev_co_u32_e64 v13, s[0:1], 0, v13, s[0:1]
	v_cmp_le_u32_e64 s[0:1], s25, v13
	v_cndmask_b32_e64 v15, 0, -1, s[0:1]
	v_cmp_le_u32_e64 s[0:1], s24, v14
	v_cndmask_b32_e64 v14, 0, -1, s[0:1]
	v_cmp_eq_u32_e64 s[0:1], s25, v13
	v_cndmask_b32_e64 v13, v15, v14, s[0:1]
	v_add_co_u32_e64 v14, s[0:1], 2, v9
	v_addc_co_u32_e64 v15, s[0:1], 0, v12, s[0:1]
	v_add_co_u32_e64 v16, s[0:1], 1, v9
	v_addc_co_u32_e64 v17, s[0:1], 0, v12, s[0:1]
	v_subb_co_u32_e32 v5, vcc, v7, v5, vcc
	v_cmp_ne_u32_e64 s[0:1], 0, v13
	v_cmp_le_u32_e32 vcc, s25, v5
	v_cndmask_b32_e64 v13, v17, v15, s[0:1]
	v_cndmask_b32_e64 v15, 0, -1, vcc
	v_cmp_le_u32_e32 vcc, s24, v4
	v_cndmask_b32_e64 v4, 0, -1, vcc
	v_cmp_eq_u32_e32 vcc, s25, v5
	v_cndmask_b32_e32 v4, v15, v4, vcc
	v_cmp_ne_u32_e32 vcc, 0, v4
	v_cndmask_b32_e64 v4, v16, v14, s[0:1]
	v_cndmask_b32_e32 v5, v12, v13, vcc
	v_cndmask_b32_e32 v4, v9, v4, vcc
.LBB0_4:                                ;   in Loop: Header=BB0_2 Depth=1
	s_andn2_saveexec_b64 s[0:1], s[26:27]
	s_cbranch_execz .LBB0_6
; %bb.5:                                ;   in Loop: Header=BB0_2 Depth=1
	v_cvt_f32_u32_e32 v4, s24
	s_sub_i32 s26, 0, s24
	v_rcp_iflag_f32_e32 v4, v4
	v_mul_f32_e32 v4, 0x4f7ffffe, v4
	v_cvt_u32_f32_e32 v4, v4
	v_mul_lo_u32 v5, s26, v4
	v_mul_hi_u32 v5, v4, v5
	v_add_u32_e32 v4, v4, v5
	v_mul_hi_u32 v4, v6, v4
	v_mul_lo_u32 v5, v4, s24
	v_add_u32_e32 v9, 1, v4
	v_sub_u32_e32 v5, v6, v5
	v_subrev_u32_e32 v12, s24, v5
	v_cmp_le_u32_e32 vcc, s24, v5
	v_cndmask_b32_e32 v5, v5, v12, vcc
	v_cndmask_b32_e32 v4, v4, v9, vcc
	v_add_u32_e32 v9, 1, v4
	v_cmp_le_u32_e32 vcc, s24, v5
	v_cndmask_b32_e32 v4, v4, v9, vcc
	v_mov_b32_e32 v5, v3
.LBB0_6:                                ;   in Loop: Header=BB0_2 Depth=1
	s_or_b64 exec, exec, s[0:1]
	v_mul_lo_u32 v9, v5, s24
	v_mul_lo_u32 v14, v4, s25
	v_mad_u64_u32 v[12:13], s[0:1], v4, s24, 0
	s_load_dwordx2 s[0:1], s[6:7], 0x0
	s_load_dwordx2 s[24:25], s[2:3], 0x0
	v_add3_u32 v9, v13, v14, v9
	v_sub_co_u32_e32 v6, vcc, v6, v12
	v_subb_co_u32_e32 v7, vcc, v7, v9, vcc
	s_waitcnt lgkmcnt(0)
	v_mul_lo_u32 v9, s0, v7
	v_mul_lo_u32 v12, s1, v6
	v_mad_u64_u32 v[10:11], s[0:1], s0, v6, v[10:11]
	v_mul_lo_u32 v7, s24, v7
	v_mul_lo_u32 v13, s25, v6
	v_mad_u64_u32 v[1:2], s[0:1], s24, v6, v[1:2]
	s_add_u32 s22, s22, 1
	s_addc_u32 s23, s23, 0
	s_add_u32 s2, s2, 8
	v_add3_u32 v2, v13, v2, v7
	s_addc_u32 s3, s3, 0
	v_mov_b32_e32 v6, s14
	s_add_u32 s6, s6, 8
	v_mov_b32_e32 v7, s15
	s_addc_u32 s7, s7, 0
	v_cmp_ge_u64_e32 vcc, s[22:23], v[6:7]
	s_add_u32 s20, s20, 8
	v_add3_u32 v11, v12, v11, v9
	s_addc_u32 s21, s21, 0
	s_cbranch_vccnz .LBB0_8
; %bb.7:                                ;   in Loop: Header=BB0_2 Depth=1
	v_mov_b32_e32 v7, v5
	v_mov_b32_e32 v6, v4
	s_branch .LBB0_2
.LBB0_8:
	s_lshl_b64 s[14:15], s[14:15], 3
	s_load_dwordx2 s[0:1], s[4:5], 0x28
	s_add_u32 s2, s18, s14
	s_mov_b32 s3, 0x6906907
	v_mul_hi_u32 v3, v0, s3
	s_addc_u32 s3, s19, s15
	s_load_dwordx2 s[2:3], s[2:3], 0x0
	s_waitcnt lgkmcnt(0)
	v_cmp_gt_u64_e32 vcc, s[0:1], v[4:5]
	v_mul_u32_u24_e32 v3, 39, v3
	v_sub_u32_e32 v6, v0, v3
	v_mov_b32_e32 v3, 0
	v_mov_b32_e32 v7, 0
                                        ; implicit-def: $vgpr15
                                        ; implicit-def: $vgpr16
                                        ; implicit-def: $vgpr17
                                        ; implicit-def: $vgpr18
                                        ; implicit-def: $vgpr19
                                        ; implicit-def: $vgpr20
                                        ; implicit-def: $vgpr21
                                        ; implicit-def: $vgpr22
                                        ; implicit-def: $vgpr23
                                        ; implicit-def: $vgpr24
                                        ; implicit-def: $vgpr25
                                        ; implicit-def: $vgpr26
	s_and_saveexec_b64 s[4:5], vcc
	s_cbranch_execz .LBB0_12
; %bb.9:
	v_cmp_gt_u32_e64 s[0:1], 27, v6
	v_mov_b32_e32 v7, 0
                                        ; implicit-def: $vgpr26
                                        ; implicit-def: $vgpr25
                                        ; implicit-def: $vgpr24
                                        ; implicit-def: $vgpr23
                                        ; implicit-def: $vgpr22
                                        ; implicit-def: $vgpr21
                                        ; implicit-def: $vgpr20
                                        ; implicit-def: $vgpr19
                                        ; implicit-def: $vgpr18
                                        ; implicit-def: $vgpr17
                                        ; implicit-def: $vgpr16
                                        ; implicit-def: $vgpr15
	s_and_saveexec_b64 s[6:7], s[0:1]
	s_cbranch_execz .LBB0_11
; %bb.10:
	s_add_u32 s0, s16, s14
	s_addc_u32 s1, s17, s15
	s_load_dwordx2 s[0:1], s[0:1], 0x0
	v_mov_b32_e32 v9, s9
	v_mov_b32_e32 v7, 0
	s_waitcnt lgkmcnt(0)
	v_mul_lo_u32 v0, s1, v4
	v_mul_lo_u32 v3, s0, v5
	v_mad_u64_u32 v[12:13], s[0:1], s0, v4, 0
	v_add3_u32 v13, v13, v3, v0
	v_lshlrev_b64 v[12:13], 2, v[12:13]
	v_add_co_u32_e64 v0, s[0:1], s8, v12
	v_addc_co_u32_e64 v3, s[0:1], v9, v13, s[0:1]
	v_lshlrev_b64 v[9:10], 2, v[10:11]
	v_add_co_u32_e64 v0, s[0:1], v0, v9
	v_addc_co_u32_e64 v3, s[0:1], v3, v10, s[0:1]
	;; [unrolled: 3-line block ×3, first 2 shown]
	global_load_dword v7, v[9:10], off
	global_load_dword v19, v[9:10], off offset:108
	global_load_dword v21, v[9:10], off offset:216
	;; [unrolled: 1-line block ×12, first 2 shown]
.LBB0_11:
	s_or_b64 exec, exec, s[6:7]
	v_mov_b32_e32 v3, v6
.LBB0_12:
	s_or_b64 exec, exec, s[4:5]
	s_mov_b32 s0, 0xaaaaaaab
	v_mul_hi_u32 v0, v8, s0
	v_cmp_gt_u32_e64 s[0:1], 27, v6
	v_lshrrev_b32_e32 v0, 1, v0
	v_lshl_add_u32 v0, v0, 1, v0
	v_sub_u32_e32 v0, v8, v0
	v_mul_u32_u24_e32 v0, 0x15f, v0
	v_lshlrev_b32_e32 v0, 2, v0
	s_and_saveexec_b64 s[4:5], s[0:1]
	s_cbranch_execz .LBB0_14
; %bb.13:
	s_waitcnt vmcnt(0)
	v_pk_add_f16 v11, v19, v20 neg_lo:[0,1] neg_hi:[0,1]
	v_pk_add_f16 v8, v19, v20
	v_lshrrev_b32_e32 v14, 16, v8
	v_pk_add_f16 v12, v21, v22 neg_lo:[0,1] neg_hi:[0,1]
	v_pk_add_f16 v9, v21, v22
	s_movk_i32 s0, 0x388b
	v_mul_f16_e32 v28, 0xba95, v11
	v_lshrrev_b32_e32 v27, 16, v9
	s_mov_b32 s1, 0xb5ac
	v_fma_f16 v29, v14, s0, -v28
	v_mul_f16_e32 v30, 0xbb7b, v12
	v_pk_add_f16 v13, v23, v24 neg_lo:[0,1] neg_hi:[0,1]
	v_pk_add_f16 v10, v23, v24
	v_add_f16_sdwa v29, v7, v29 dst_sel:DWORD dst_unused:UNUSED_PAD src0_sel:WORD_1 src1_sel:DWORD
	v_fma_f16 v31, v27, s1, -v30
	v_add_f16_e32 v29, v29, v31
	v_lshrrev_b32_e32 v31, 16, v10
	s_mov_b32 s7, 0xbbc4
	v_mul_f16_e32 v32, 0xb3a8, v13
	v_fma_f16 v33, v31, s7, -v32
	v_add_f16_e32 v29, v29, v33
	v_pk_add_f16 v33, v25, v26 neg_lo:[0,1] neg_hi:[0,1]
	v_pk_add_f16 v34, v25, v26
	s_mov_b32 s6, 0xb9fd
	v_lshrrev_b32_e32 v35, 16, v34
	v_mul_f16_e32 v36, 0x394e, v33
	v_fma_f16 v37, v35, s6, -v36
	v_add_f16_e32 v29, v29, v37
	v_pk_add_f16 v37, v17, v18 neg_lo:[0,1] neg_hi:[0,1]
	v_pk_add_f16 v38, v17, v18
	s_movk_i32 s8, 0x2fb7
	v_lshrrev_b32_e32 v39, 16, v38
	v_mul_f16_e32 v40, 0x3bf1, v37
	v_fma_f16 v41, v39, s8, -v40
	v_add_f16_e32 v29, v41, v29
	v_pk_add_f16 v41, v15, v16 neg_lo:[0,1] neg_hi:[0,1]
	v_pk_add_f16 v42, v15, v16
	s_movk_i32 s9, 0x3b15
	v_lshrrev_b32_e32 v43, 16, v42
	v_mul_f16_e32 v44, 0x3770, v41
	v_fma_f16 v45, v43, s9, -v44
	v_add_f16_e32 v29, v45, v29
	v_lshrrev_b32_e32 v45, 16, v11
	v_mul_f16_e32 v46, 0xba95, v45
	v_lshrrev_b32_e32 v48, 16, v12
	v_fma_f16 v47, v8, s0, v46
	v_mul_f16_e32 v49, 0xbb7b, v48
	v_add_f16_e32 v47, v7, v47
	v_fma_f16 v50, v9, s1, v49
	v_add_f16_e32 v47, v47, v50
	v_lshrrev_b32_e32 v50, 16, v13
	v_mul_f16_e32 v51, 0xb3a8, v50
	v_fma_f16 v52, v10, s7, v51
	v_add_f16_e32 v47, v47, v52
	v_lshrrev_b32_e32 v52, 16, v33
	v_mul_f16_e32 v53, 0x394e, v52
	;; [unrolled: 4-line block ×4, first 2 shown]
	v_fma_f16 v58, v42, s9, v57
	v_add_f16_e32 v47, v58, v47
	v_mul_f16_e32 v58, 0xb770, v11
	v_fma_f16 v59, v14, s9, -v58
	v_mul_f16_e32 v60, 0xba95, v12
	v_add_f16_sdwa v59, v7, v59 dst_sel:DWORD dst_unused:UNUSED_PAD src0_sel:WORD_1 src1_sel:DWORD
	v_fma_f16 v61, v27, s0, -v60
	v_add_f16_e32 v59, v59, v61
	v_mul_f16_e32 v61, 0xbbf1, v13
	v_fma_f16 v62, v31, s8, -v61
	v_add_f16_e32 v59, v59, v62
	v_mul_f16_e32 v62, 0xbb7b, v33
	;; [unrolled: 3-line block ×5, first 2 shown]
	v_fma_f16 v66, v8, s9, v65
	v_mul_f16_e32 v67, 0xba95, v48
	v_add_f16_e32 v66, v7, v66
	v_fma_f16 v68, v9, s0, v67
	v_add_f16_e32 v66, v66, v68
	v_mul_f16_e32 v68, 0xbbf1, v50
	v_fma_f16 v69, v10, s8, v68
	v_add_f16_e32 v66, v66, v69
	v_mul_f16_e32 v69, 0xbb7b, v52
	;; [unrolled: 3-line block ×4, first 2 shown]
	v_fma_f16 v72, v42, s7, v71
	v_add_f16_e32 v66, v72, v66
	v_pack_b32_f16 v29, v47, v29
	v_pack_b32_f16 v47, v66, v59
	v_mul_u32_u24_e32 v59, 52, v6
	v_add3_u32 v59, 0, v59, v0
	ds_write2_b32 v59, v47, v29 offset0:1 offset1:2
	v_mul_f16_e32 v29, 0xbb7b, v11
	v_fma_f16 v47, v14, s1, -v29
	v_mul_f16_e32 v66, 0x394e, v12
	v_add_f16_sdwa v47, v7, v47 dst_sel:DWORD dst_unused:UNUSED_PAD src0_sel:WORD_1 src1_sel:DWORD
	v_fma_f16 v72, v27, s6, -v66
	v_add_f16_e32 v47, v47, v72
	v_mul_f16_e32 v72, 0x3770, v13
	v_fma_f16 v73, v31, s9, -v72
	v_add_f16_e32 v47, v47, v73
	v_mul_f16_e32 v73, 0xbbf1, v33
	;; [unrolled: 3-line block ×5, first 2 shown]
	v_fma_f16 v77, v8, s1, v76
	v_mul_f16_e32 v78, 0x394e, v48
	v_add_f16_e32 v77, v7, v77
	v_fma_f16 v79, v9, s6, v78
	v_add_f16_e32 v77, v77, v79
	v_mul_f16_e32 v79, 0x3770, v50
	v_fma_f16 v80, v10, s9, v79
	v_add_f16_e32 v77, v77, v80
	v_mul_f16_e32 v80, 0xbbf1, v52
	;; [unrolled: 3-line block ×5, first 2 shown]
	v_fma_f16 v84, v14, s8, -v83
	v_mul_f16_e32 v85, 0xb3a8, v12
	v_add_f16_sdwa v84, v7, v84 dst_sel:DWORD dst_unused:UNUSED_PAD src0_sel:WORD_1 src1_sel:DWORD
	v_fma_f16 v86, v27, s7, -v85
	v_add_f16_e32 v84, v84, v86
	v_mul_f16_e32 v86, 0x3b7b, v13
	v_fma_f16 v87, v31, s1, -v86
	v_add_f16_e32 v84, v84, v87
	v_mul_f16_e32 v87, 0x3770, v33
	;; [unrolled: 3-line block ×5, first 2 shown]
	v_fma_f16 v91, v8, s8, v90
	v_mul_f16_e32 v92, 0xb3a8, v48
	v_add_f16_e32 v91, v7, v91
	v_fma_f16 v93, v9, s7, v92
	v_add_f16_e32 v91, v91, v93
	v_mul_f16_e32 v93, 0x3b7b, v50
	v_fma_f16 v94, v10, s1, v93
	v_add_f16_e32 v91, v91, v94
	v_mul_f16_e32 v94, 0x3770, v52
	;; [unrolled: 3-line block ×4, first 2 shown]
	v_fma_f16 v97, v42, s6, v96
	v_add_f16_e32 v91, v97, v91
	v_pack_b32_f16 v47, v77, v47
	v_pack_b32_f16 v77, v91, v84
	ds_write2_b32 v59, v77, v47 offset0:3 offset1:4
	v_mul_f16_e32 v47, 0xb94e, v11
	v_fma_f16 v77, v14, s6, -v47
	v_mul_f16_e32 v84, 0x3bf1, v12
	v_add_f16_sdwa v77, v7, v77 dst_sel:DWORD dst_unused:UNUSED_PAD src0_sel:WORD_1 src1_sel:DWORD
	v_fma_f16 v91, v27, s8, -v84
	v_add_f16_e32 v77, v77, v91
	v_mul_f16_e32 v91, 0xba95, v13
	v_fma_f16 v97, v31, s0, -v91
	v_add_f16_e32 v77, v77, v97
	v_mul_f16_e32 v97, 0x33a8, v33
	;; [unrolled: 3-line block ×4, first 2 shown]
	v_fma_f16 v100, v43, s1, -v99
	v_add_f16_e32 v77, v100, v77
	s_mov_b32 s14, 0xb94e
	v_mul_f16_e32 v100, 0xb9fd, v8
	s_movk_i32 s15, 0x3bf1
	v_fma_f16 v101, v45, s14, v100
	v_mul_f16_e32 v102, 0x2fb7, v9
	v_pk_add_f16 v19, v7, v19
	v_add_f16_e32 v101, v7, v101
	v_fma_f16 v103, v48, s15, v102
	v_pk_add_f16 v19, v19, v21
	v_add_f16_e32 v101, v101, v103
	s_mov_b32 s16, 0xba95
	v_mul_f16_e32 v103, 0x388b, v10
	v_pk_add_f16 v19, v19, v23
	v_fma_f16 v104, v50, s16, v103
	v_pk_add_f16 v19, v19, v25
	v_add_f16_e32 v101, v101, v104
	s_movk_i32 s16, 0x33a8
	v_mul_f16_e32 v104, 0xbbc4, v34
	v_pk_add_f16 v17, v19, v17
	v_fma_f16 v105, v52, s16, v104
	v_pk_add_f16 v15, v17, v15
	v_add_f16_e32 v101, v101, v105
	s_movk_i32 s16, 0x3770
	v_mul_f16_e32 v105, 0x3b15, v38
	v_pk_add_f16 v15, v15, v16
	v_fma_f16 v106, v54, s16, v105
	v_pk_add_f16 v15, v15, v18
	v_add_f16_e32 v101, v106, v101
	s_mov_b32 s17, 0xbb7b
	v_mul_f16_e32 v106, 0xb5ac, v42
	v_pk_add_f16 v15, v15, v26
	v_fma_f16 v107, v56, s17, v106
	v_pk_add_f16 v15, v24, v15
	v_add_f16_e32 v101, v107, v101
	v_pk_add_f16 v15, v22, v15
	v_pk_add_f16 v15, v20, v15
	v_pack_b32_f16 v16, v101, v77
	ds_write2_b32 v59, v15, v16 offset1:5
	v_fma_f16 v15, v14, s6, v47
	v_add_f16_sdwa v15, v7, v15 dst_sel:DWORD dst_unused:UNUSED_PAD src0_sel:WORD_1 src1_sel:DWORD
	v_fma_f16 v16, v27, s8, v84
	v_add_f16_e32 v15, v15, v16
	v_fma_f16 v16, v31, s0, v91
	v_add_f16_e32 v15, v15, v16
	;; [unrolled: 2-line block ×4, first 2 shown]
	v_fma_f16 v16, v43, s1, v99
	s_movk_i32 s18, 0x394e
	v_add_f16_e32 v15, v16, v15
	v_fma_f16 v16, v45, s18, v100
	s_mov_b32 s18, 0xbbf1
	v_fma_f16 v17, v48, s18, v102
	v_add_f16_e32 v16, v7, v16
	s_movk_i32 s18, 0x3a95
	v_add_f16_e32 v16, v16, v17
	v_fma_f16 v17, v50, s18, v103
	s_mov_b32 s19, 0xb3a8
	v_add_f16_e32 v16, v16, v17
	v_fma_f16 v17, v52, s19, v104
	s_mov_b32 s20, 0xb770
	v_add_f16_e32 v16, v16, v17
	v_fma_f16 v17, v54, s20, v105
	s_movk_i32 s20, 0x3b7b
	v_add_f16_e32 v16, v17, v16
	v_fma_f16 v17, v56, s20, v106
	v_add_f16_e32 v16, v17, v16
	v_fma_f16 v17, v14, s1, v29
	v_add_f16_sdwa v17, v7, v17 dst_sel:DWORD dst_unused:UNUSED_PAD src0_sel:WORD_1 src1_sel:DWORD
	v_fma_f16 v18, v27, s6, v66
	v_add_f16_e32 v17, v17, v18
	v_fma_f16 v18, v31, s9, v72
	v_add_f16_e32 v17, v17, v18
	v_fma_f16 v18, v35, s8, v73
	v_add_f16_e32 v17, v17, v18
	v_fma_f16 v18, v39, s7, v74
	v_add_f16_e32 v17, v18, v17
	v_fma_f16 v18, v43, s0, v75
	v_add_f16_e32 v17, v18, v17
	v_fma_f16 v18, v8, s1, -v76
	v_add_f16_e32 v18, v7, v18
	v_fma_f16 v19, v9, s6, -v78
	v_add_f16_e32 v18, v18, v19
	v_fma_f16 v19, v10, s9, -v79
	v_add_f16_e32 v18, v18, v19
	v_fma_f16 v19, v34, s8, -v80
	v_add_f16_e32 v18, v18, v19
	v_fma_f16 v19, v38, s7, -v81
	v_add_f16_e32 v18, v19, v18
	v_fma_f16 v19, v42, s0, -v82
	v_add_f16_e32 v18, v19, v18
	v_fma_f16 v19, v14, s8, v83
	v_add_f16_sdwa v19, v7, v19 dst_sel:DWORD dst_unused:UNUSED_PAD src0_sel:WORD_1 src1_sel:DWORD
	v_fma_f16 v20, v27, s7, v85
	v_add_f16_e32 v19, v19, v20
	v_fma_f16 v20, v31, s1, v86
	v_add_f16_e32 v19, v19, v20
	v_fma_f16 v20, v35, s9, v87
	v_add_f16_e32 v19, v19, v20
	v_fma_f16 v20, v39, s0, v88
	v_add_f16_e32 v19, v20, v19
	v_fma_f16 v20, v43, s6, v89
	v_add_f16_e32 v19, v20, v19
	v_fma_f16 v20, v8, s8, -v90
	v_add_f16_e32 v20, v7, v20
	v_fma_f16 v21, v9, s7, -v92
	v_add_f16_e32 v20, v20, v21
	v_fma_f16 v21, v10, s1, -v93
	v_add_f16_e32 v20, v20, v21
	v_fma_f16 v21, v34, s9, -v94
	v_add_f16_e32 v20, v20, v21
	v_fma_f16 v21, v38, s0, -v95
	v_add_f16_e32 v20, v21, v20
	v_fma_f16 v21, v42, s6, -v96
	;; [unrolled: 24-line block ×3, first 2 shown]
	v_fma_f16 v14, v14, s9, v58
	v_add_f16_e32 v22, v23, v22
	v_fma_f16 v23, v27, s0, v60
	v_add_f16_sdwa v14, v7, v14 dst_sel:DWORD dst_unused:UNUSED_PAD src0_sel:WORD_1 src1_sel:DWORD
	v_add_f16_e32 v14, v14, v23
	v_fma_f16 v23, v31, s8, v61
	v_add_f16_e32 v14, v14, v23
	v_fma_f16 v23, v35, s1, v62
	;; [unrolled: 2-line block ×4, first 2 shown]
	v_add_f16_e32 v14, v23, v14
	v_fma_f16 v23, v8, s9, -v65
	v_add_f16_e32 v23, v7, v23
	v_fma_f16 v24, v9, s0, -v67
	;; [unrolled: 2-line block ×6, first 2 shown]
	v_pk_mul_f16 v11, v11, s19 op_sel_hi:[1,0]
	v_add_f16_e32 v23, v24, v23
	v_pk_fma_f16 v24, v8, s7, v11 op_sel:[0,0,1] op_sel_hi:[1,0,0]
	v_pk_mul_f16 v12, v12, s16 op_sel_hi:[1,0]
	v_pk_add_f16 v24, v7, v24
	v_pk_fma_f16 v25, v9, s9, v12 op_sel:[0,0,1] op_sel_hi:[1,0,0]
	v_pk_mul_f16 v13, v13, s14 op_sel_hi:[1,0]
	v_pk_add_f16 v24, v24, v25
	v_pk_fma_f16 v25, v10, s6, v13 op_sel:[0,0,1] op_sel_hi:[1,0,0]
	v_pk_add_f16 v24, v24, v25
	v_pk_mul_f16 v25, v33, s18 op_sel_hi:[1,0]
	v_pk_fma_f16 v8, v8, s7, v11 op_sel:[0,0,1] op_sel_hi:[1,0,0] neg_lo:[0,0,1] neg_hi:[0,0,1]
	v_pk_fma_f16 v26, v34, s0, v25 op_sel:[0,0,1] op_sel_hi:[1,0,0]
	v_pk_add_f16 v7, v7, v8
	v_pk_fma_f16 v8, v9, s9, v12 op_sel:[0,0,1] op_sel_hi:[1,0,0] neg_lo:[0,0,1] neg_hi:[0,0,1]
	v_pk_add_f16 v24, v24, v26
	v_pk_mul_f16 v26, v37, s17 op_sel_hi:[1,0]
	v_pk_add_f16 v7, v7, v8
	v_pk_fma_f16 v8, v10, s6, v13 op_sel:[0,0,1] op_sel_hi:[1,0,0] neg_lo:[0,0,1] neg_hi:[0,0,1]
	v_pk_fma_f16 v27, v38, s1, v26 op_sel:[0,0,1] op_sel_hi:[1,0,0]
	v_pk_add_f16 v7, v7, v8
	v_pk_fma_f16 v8, v34, s0, v25 op_sel:[0,0,1] op_sel_hi:[1,0,0] neg_lo:[0,0,1] neg_hi:[0,0,1]
	v_pk_add_f16 v24, v27, v24
	v_pk_mul_f16 v27, v41, s15 op_sel_hi:[1,0]
	v_pk_add_f16 v7, v7, v8
	v_pk_fma_f16 v8, v38, s1, v26 op_sel:[0,0,1] op_sel_hi:[1,0,0] neg_lo:[0,0,1] neg_hi:[0,0,1]
	v_pk_fma_f16 v28, v42, s8, v27 op_sel:[0,0,1] op_sel_hi:[1,0,0]
	v_pk_add_f16 v7, v8, v7
	v_pk_fma_f16 v8, v42, s8, v27 op_sel:[0,0,1] op_sel_hi:[1,0,0] neg_lo:[0,0,1] neg_hi:[0,0,1]
	v_pk_add_f16 v24, v28, v24
	v_pk_add_f16 v7, v8, v7
	s_mov_b32 s0, 0xffff
	v_bfi_b32 v8, s0, v7, v24
	v_bfi_b32 v7, s0, v24, v7
	ds_write2_b32 v59, v7, v8 offset0:6 offset1:7
	v_pack_b32_f16 v7, v16, v15
	v_pack_b32_f16 v8, v18, v17
	ds_write2_b32 v59, v7, v8 offset0:8 offset1:9
	v_pack_b32_f16 v7, v22, v21
	v_pack_b32_f16 v8, v20, v19
	ds_write2_b32 v59, v8, v7 offset0:10 offset1:11
	v_pack_b32_f16 v7, v23, v14
	ds_write_b32 v59, v7 offset:48
.LBB0_14:
	s_or_b64 exec, exec, s[4:5]
	s_movk_i32 s0, 0x4f
	s_waitcnt vmcnt(12)
	v_mul_lo_u16_sdwa v7, v6, s0 dst_sel:DWORD dst_unused:UNUSED_PAD src0_sel:BYTE_0 src1_sel:DWORD
	s_waitcnt vmcnt(2)
	v_lshrrev_b16_e32 v24, 10, v7
	v_add_u16_e32 v9, 39, v6
	v_mul_lo_u16_e32 v7, 13, v24
	v_mul_lo_u16_sdwa v10, v9, s0 dst_sel:DWORD dst_unused:UNUSED_PAD src0_sel:BYTE_0 src1_sel:DWORD
	v_sub_u16_e32 v25, v6, v7
	v_mov_b32_e32 v7, 3
	v_lshrrev_b16_e32 v26, 10, v10
	v_lshlrev_b32_sdwa v8, v7, v25 dst_sel:DWORD dst_unused:UNUSED_PAD src0_sel:DWORD src1_sel:BYTE_0
	v_mul_lo_u16_e32 v10, 13, v26
	s_waitcnt vmcnt(0) lgkmcnt(0)
	s_barrier
	v_sub_u16_e32 v27, v9, v10
	global_load_dwordx2 v[10:11], v8, s[12:13]
	v_add_u16_e32 v8, 0x4e, v6
	v_mul_lo_u16_sdwa v12, v8, s0 dst_sel:DWORD dst_unused:UNUSED_PAD src0_sel:BYTE_0 src1_sel:DWORD
	v_lshlrev_b32_sdwa v9, v7, v27 dst_sel:DWORD dst_unused:UNUSED_PAD src0_sel:DWORD src1_sel:BYTE_0
	v_lshrrev_b16_e32 v28, 10, v12
	global_load_dwordx2 v[12:13], v9, s[12:13]
	v_mul_lo_u16_e32 v9, 13, v28
	v_sub_u16_e32 v29, v8, v9
	v_lshlrev_b32_sdwa v7, v7, v29 dst_sel:DWORD dst_unused:UNUSED_PAD src0_sel:DWORD src1_sel:BYTE_0
	global_load_dwordx2 v[14:15], v7, s[12:13]
	v_lshlrev_b32_e32 v8, 2, v6
	v_add3_u32 v7, 0, v0, v8
	v_add3_u32 v8, 0, v8, v0
	ds_read_b32 v30, v7
	ds_read2_b32 v[16:17], v8 offset0:117 offset1:156
	ds_read2_b32 v[18:19], v8 offset0:39 offset1:78
	;; [unrolled: 1-line block ×3, first 2 shown]
	v_add_u32_e32 v9, 0x400, v8
	ds_read2_b32 v[22:23], v9 offset0:17 offset1:56
	s_waitcnt lgkmcnt(3)
	v_lshrrev_b32_e32 v34, 16, v16
	v_lshrrev_b32_e32 v36, 16, v17
	s_waitcnt lgkmcnt(1)
	v_lshrrev_b32_e32 v35, 16, v21
	v_lshrrev_b32_e32 v37, 16, v20
	;; [unrolled: 3-line block ×3, first 2 shown]
	v_lshrrev_b32_e32 v31, 16, v30
	v_lshrrev_b32_e32 v32, 16, v18
	s_mov_b32 s1, 0xbaee
	s_movk_i32 s0, 0x3aee
	v_lshrrev_b32_e32 v33, 16, v19
	s_movk_i32 s4, 0x9c
	s_waitcnt vmcnt(0)
	s_barrier
	v_mul_f16_sdwa v40, v10, v34 dst_sel:DWORD dst_unused:UNUSED_PAD src0_sel:WORD_1 src1_sel:DWORD
	v_mul_f16_sdwa v42, v11, v35 dst_sel:DWORD dst_unused:UNUSED_PAD src0_sel:WORD_1 src1_sel:DWORD
	;; [unrolled: 1-line block ×4, first 2 shown]
	v_fma_f16 v16, v10, v16, v40
	v_mul_f16_sdwa v44, v12, v36 dst_sel:DWORD dst_unused:UNUSED_PAD src0_sel:WORD_1 src1_sel:DWORD
	v_mul_f16_sdwa v45, v12, v17 dst_sel:DWORD dst_unused:UNUSED_PAD src0_sel:WORD_1 src1_sel:DWORD
	;; [unrolled: 1-line block ×4, first 2 shown]
	v_fma_f16 v21, v11, v21, v42
	v_mul_f16_sdwa v48, v14, v37 dst_sel:DWORD dst_unused:UNUSED_PAD src0_sel:WORD_1 src1_sel:DWORD
	v_mul_f16_sdwa v49, v14, v20 dst_sel:DWORD dst_unused:UNUSED_PAD src0_sel:WORD_1 src1_sel:DWORD
	v_mul_f16_sdwa v50, v38, v15 dst_sel:DWORD dst_unused:UNUSED_PAD src0_sel:DWORD src1_sel:WORD_1
	v_mul_f16_sdwa v51, v23, v15 dst_sel:DWORD dst_unused:UNUSED_PAD src0_sel:DWORD src1_sel:WORD_1
	v_fma_f16 v10, v10, v34, -v41
	v_fma_f16 v11, v11, v35, -v43
	v_fma_f16 v17, v12, v17, v44
	v_fma_f16 v12, v12, v36, -v45
	v_fma_f16 v22, v13, v22, v46
	v_fma_f16 v13, v13, v39, -v47
	v_add_f16_e32 v35, v16, v21
	v_fma_f16 v20, v14, v20, v48
	v_fma_f16 v14, v14, v37, -v49
	v_fma_f16 v23, v23, v15, v50
	v_fma_f16 v15, v38, v15, -v51
	v_add_f16_e32 v34, v30, v16
	v_sub_f16_e32 v36, v10, v11
	v_add_f16_e32 v37, v31, v10
	v_add_f16_e32 v10, v10, v11
	;; [unrolled: 1-line block ×3, first 2 shown]
	v_sub_f16_e32 v40, v12, v13
	v_add_f16_e32 v41, v32, v12
	v_fma_f16 v30, v35, -0.5, v30
	v_add_f16_e32 v12, v12, v13
	v_sub_f16_e32 v16, v16, v21
	v_add_f16_e32 v39, v17, v22
	v_add_f16_e32 v21, v34, v21
	v_fma_f16 v10, v10, -0.5, v31
	v_add_f16_e32 v31, v38, v22
	v_fma_f16 v34, v36, s1, v30
	v_fma_f16 v30, v36, s0, v30
	v_add_f16_e32 v36, v41, v13
	v_fma_f16 v12, v12, -0.5, v32
	v_sub_f16_e32 v13, v17, v22
	v_add_f16_e32 v22, v20, v23
	v_fma_f16 v17, v13, s0, v12
	v_fma_f16 v12, v13, s1, v12
	v_add_f16_e32 v13, v19, v20
	v_fma_f16 v19, v22, -0.5, v19
	v_sub_f16_e32 v22, v14, v15
	v_fma_f16 v32, v22, s1, v19
	v_fma_f16 v19, v22, s0, v19
	v_add_f16_e32 v22, v33, v14
	v_add_f16_e32 v14, v14, v15
	;; [unrolled: 1-line block ×4, first 2 shown]
	v_fma_f16 v14, v14, -0.5, v33
	v_sub_f16_e32 v15, v20, v23
	v_mov_b32_e32 v23, 2
	v_add_f16_e32 v11, v37, v11
	v_fma_f16 v35, v16, s0, v10
	v_fma_f16 v10, v16, s1, v10
	;; [unrolled: 1-line block ×4, first 2 shown]
	v_mad_u32_u24 v15, v24, s4, 0
	v_lshlrev_b32_sdwa v24, v23, v25 dst_sel:DWORD dst_unused:UNUSED_PAD src0_sel:DWORD src1_sel:BYTE_0
	v_fma_f16 v18, v39, -0.5, v18
	v_add3_u32 v15, v15, v24, v0
	v_pack_b32_f16 v11, v21, v11
	v_pack_b32_f16 v21, v34, v35
	;; [unrolled: 1-line block ×3, first 2 shown]
	v_fma_f16 v16, v40, s1, v18
	ds_write2_b32 v15, v11, v21 offset1:13
	ds_write_b32 v15, v10 offset:104
	v_mad_u32_u24 v10, v26, s4, 0
	v_lshlrev_b32_sdwa v11, v23, v27 dst_sel:DWORD dst_unused:UNUSED_PAD src0_sel:DWORD src1_sel:BYTE_0
	v_fma_f16 v18, v40, s0, v18
	v_add3_u32 v10, v10, v11, v0
	v_pack_b32_f16 v11, v31, v36
	v_pack_b32_f16 v15, v16, v17
	ds_write2_b32 v10, v11, v15 offset1:13
	v_pack_b32_f16 v11, v18, v12
	ds_write_b32 v10, v11 offset:104
	v_mad_u32_u24 v10, v28, s4, 0
	v_lshlrev_b32_sdwa v11, v23, v29 dst_sel:DWORD dst_unused:UNUSED_PAD src0_sel:DWORD src1_sel:BYTE_0
	v_add3_u32 v0, v10, v11, v0
	v_pack_b32_f16 v10, v13, v22
	v_pack_b32_f16 v11, v32, v20
	ds_write2_b32 v0, v10, v11 offset1:13
	v_pack_b32_f16 v10, v19, v14
	ds_write_b32 v0, v10 offset:104
	s_waitcnt lgkmcnt(0)
	s_barrier
	s_and_saveexec_b64 s[4:5], vcc
	s_cbranch_execz .LBB0_16
; %bb.15:
	v_lshlrev_b32_e32 v17, 3, v6
	v_mov_b32_e32 v18, 0
	v_lshlrev_b64 v[10:11], 2, v[17:18]
	v_mov_b32_e32 v0, s13
	v_add_co_u32_e32 v19, vcc, s12, v10
	v_addc_co_u32_e32 v20, vcc, v0, v11, vcc
	global_load_dwordx4 v[10:13], v[19:20], off offset:104
	global_load_dwordx4 v[14:17], v[19:20], off offset:120
	ds_read2_b32 v[19:20], v8 offset0:39 offset1:78
	ds_read2_b32 v[21:22], v9 offset0:17 offset1:56
	ds_read2_b32 v[23:24], v8 offset0:117 offset1:156
	ds_read2_b32 v[25:26], v8 offset0:195 offset1:234
	v_mul_lo_u32 v0, s3, v4
	v_mul_lo_u32 v27, s2, v5
	v_mad_u64_u32 v[5:6], s[2:3], s2, v4, 0
	ds_read_u16 v4, v8 offset:938
	ds_read_b32 v7, v7
	s_waitcnt lgkmcnt(3)
	v_lshrrev_b32_e32 v9, 16, v23
	v_add3_u32 v6, v6, v27, v0
	v_lshrrev_b32_e32 v27, 16, v20
	v_lshrrev_b32_e32 v29, 16, v24
	s_waitcnt lgkmcnt(2)
	v_lshrrev_b32_e32 v30, 16, v25
	v_lshrrev_b32_e32 v28, 16, v21
	;; [unrolled: 1-line block ×3, first 2 shown]
	s_movk_i32 s5, 0x3a21
	s_mov_b32 s3, 0xb924
	s_movk_i32 s6, 0x318f
	v_lshrrev_b32_e32 v8, 16, v22
	s_movk_i32 s4, 0x3579
	s_mov_b32 s7, 0xbb84
	s_movk_i32 s2, 0x3be1
	v_lshlrev_b64 v[5:6], 2, v[5:6]
	v_add_co_u32_e32 v5, vcc, s10, v5
	s_waitcnt vmcnt(1)
	v_mul_f16_sdwa v35, v12, v23 dst_sel:DWORD dst_unused:UNUSED_PAD src0_sel:WORD_1 src1_sel:DWORD
	s_waitcnt vmcnt(0)
	v_lshrrev_b32_e32 v32, 16, v15
	v_lshrrev_b32_e32 v33, 16, v16
	v_mul_f16_sdwa v36, v11, v20 dst_sel:DWORD dst_unused:UNUSED_PAD src0_sel:WORD_1 src1_sel:DWORD
	v_mul_f16_sdwa v37, v13, v24 dst_sel:DWORD dst_unused:UNUSED_PAD src0_sel:WORD_1 src1_sel:DWORD
	;; [unrolled: 1-line block ×5, first 2 shown]
	v_mul_f16_e32 v41, v16, v21
	v_mul_f16_sdwa v42, v11, v27 dst_sel:DWORD dst_unused:UNUSED_PAD src0_sel:WORD_1 src1_sel:DWORD
	v_mul_f16_e32 v43, v15, v26
	v_mul_f16_sdwa v44, v12, v9 dst_sel:DWORD dst_unused:UNUSED_PAD src0_sel:WORD_1 src1_sel:DWORD
	v_mul_f16_e32 v26, v32, v26
	v_mul_f16_e32 v21, v33, v21
	v_fma_f16 v9, v12, v9, -v35
	v_fma_f16 v27, v11, v27, -v36
	;; [unrolled: 1-line block ×4, first 2 shown]
	v_fma_f16 v14, v14, v25, v39
	v_fma_f16 v13, v13, v24, v40
	;; [unrolled: 1-line block ×3, first 2 shown]
	s_waitcnt lgkmcnt(1)
	v_fma_f16 v20, v4, v32, v43
	v_fma_f16 v12, v12, v23, v44
	v_fma_f16 v4, v15, v4, -v26
	v_fma_f16 v15, v16, v28, -v21
	v_mul_f16_sdwa v31, v10, v19 dst_sel:DWORD dst_unused:UNUSED_PAD src0_sel:WORD_1 src1_sel:DWORD
	v_lshrrev_b32_e32 v34, 16, v17
	v_mul_f16_sdwa v46, v10, v0 dst_sel:DWORD dst_unused:UNUSED_PAD src0_sel:WORD_1 src1_sel:DWORD
	v_fma_f16 v24, v28, v33, v41
	v_add_f16_e32 v21, v12, v20
	v_sub_f16_e32 v12, v12, v20
	v_sub_f16_e32 v20, v13, v14
	;; [unrolled: 1-line block ×3, first 2 shown]
	v_add_f16_e32 v15, v27, v15
	s_waitcnt lgkmcnt(0)
	v_lshrrev_b32_e32 v27, 16, v7
	v_mul_f16_e32 v45, v17, v22
	v_fma_f16 v0, v10, v0, -v31
	v_mul_f16_e32 v22, v34, v22
	v_fma_f16 v10, v10, v19, v46
	v_add_f16_e32 v19, v11, v24
	v_sub_f16_e32 v11, v11, v24
	v_mul_f16_e32 v31, 0x3be1, v20
	v_add_f16_e32 v32, v29, v30
	v_fma_f16 v33, v15, s5, v27
	v_fma_f16 v23, v8, v34, v45
	v_fma_f16 v8, v17, v8, -v22
	v_sub_f16_e32 v24, v9, v4
	v_fma_f16 v31, v11, s3, -v31
	v_fma_f16 v33, v32, s6, v33
	v_add_f16_e32 v4, v9, v4
	v_add_f16_e32 v22, v10, v23
	v_sub_f16_e32 v10, v10, v23
	v_sub_f16_e32 v23, v0, v8
	v_fma_f16 v31, v12, s0, v31
	v_fma_f16 v9, v4, -0.5, v33
	v_add_f16_e32 v0, v0, v8
	v_fma_f16 v31, v10, s4, v31
	v_fma_f16 v8, v0, s7, v9
	v_add_f16_e32 v8, v31, v8
	v_fma_f16 v9, v31, -2.0, v8
	v_add_f16_e32 v31, v0, v15
	v_add_f16_e32 v33, v4, v31
	v_sub_f16_e32 v16, v29, v30
	v_add_f16_e32 v29, v33, v29
	v_add_f16_e32 v29, v29, v30
	;; [unrolled: 1-line block ×9, first 2 shown]
	v_fma_f16 v14, v30, -0.5, v14
	v_add_f16_e32 v30, v23, v16
	v_sub_f16_e32 v30, v30, v25
	v_add_f16_e32 v35, v4, v27
	v_add_f16_e32 v31, v31, v32
	v_mul_f16_e32 v36, 0xb924, v20
	v_mul_f16_e32 v33, 0x3aee, v30
	v_fma_f16 v14, v30, s1, v14
	v_fma_f16 v31, v31, -0.5, v35
	v_mul_f16_e32 v35, 0xb924, v16
	v_fma_f16 v36, v10, s2, v36
	v_fma_f16 v30, v33, 2.0, v14
	v_add_f16_e32 v33, v10, v20
	v_fma_f16 v35, v23, s2, v35
	v_fma_f16 v36, v12, s1, v36
	;; [unrolled: 1-line block ×3, first 2 shown]
	v_sub_f16_e32 v33, v33, v11
	v_fma_f16 v35, v24, s1, v35
	v_fma_f16 v36, v11, s4, v36
	;; [unrolled: 1-line block ×3, first 2 shown]
	s_movk_i32 s1, 0x3924
	v_mul_f16_e32 v11, 0x3be1, v11
	v_fma_f16 v0, v0, s5, v27
	v_fma_f16 v10, v10, s1, v11
	;; [unrolled: 1-line block ×4, first 2 shown]
	v_fma_f16 v0, v4, -0.5, v0
	v_fma_f16 v10, v20, s4, v10
	v_fma_f16 v0, v32, s7, v0
	v_add_f16_e32 v11, v10, v0
	v_mov_b32_e32 v0, s11
	v_mul_f16_e32 v26, 0x3be1, v16
	v_addc_co_u32_e32 v6, vcc, v0, v6, vcc
	v_lshlrev_b64 v[0:1], 2, v[1:2]
	v_fma_f16 v26, v25, s3, -v26
	v_mul_f16_e32 v34, 0x3aee, v33
	v_fma_f16 v31, v33, s0, v31
	v_fma_f16 v28, v19, s5, v7
	;; [unrolled: 1-line block ×3, first 2 shown]
	v_add_f16_e32 v13, v7, v13
	v_fma_f16 v33, v34, -2.0, v31
	v_fma_f16 v34, v17, s5, v7
	v_fma_f16 v35, v25, s4, v35
	v_fma_f16 v37, v4, -0.5, v37
	v_mul_f16_e32 v25, 0x3be1, v25
	v_fma_f16 v7, v22, s5, v7
	v_mov_b32_e32 v4, v18
	v_add_co_u32_e32 v2, vcc, v5, v0
	v_fma_f16 v26, v23, s4, v26
	v_fma_f16 v23, v23, s1, v25
	;; [unrolled: 1-line block ×3, first 2 shown]
	v_addc_co_u32_e32 v5, vcc, v6, v1, vcc
	v_lshlrev_b64 v[0:1], 2, v[3:4]
	v_fma_f16 v34, v22, s6, v34
	v_fma_f16 v23, v24, s0, v23
	v_fma_f16 v7, v21, -0.5, v7
	v_add_f16_e32 v29, v27, v29
	v_fma_f16 v34, v21, -0.5, v34
	v_fma_f16 v16, v16, s4, v23
	v_fma_f16 v7, v17, s7, v7
	v_add_co_u32_e32 v0, vcc, v2, v0
	v_fma_f16 v28, v17, s6, v28
	v_fma_f16 v34, v19, s7, v34
	;; [unrolled: 1-line block ×3, first 2 shown]
	v_sub_f16_e32 v7, v7, v16
	v_addc_co_u32_e32 v1, vcc, v5, v1, vcc
	v_pack_b32_f16 v2, v13, v29
	v_fma_f16 v28, v21, -0.5, v28
	v_sub_f16_e32 v34, v34, v35
	v_add_f16_e32 v37, v36, v37
	global_store_dword v[0:1], v2, off
	v_pack_b32_f16 v2, v7, v11
	v_fma_f16 v28, v22, s7, v28
	global_store_dword v[0:1], v2, off offset:156
	v_pack_b32_f16 v2, v34, v37
	v_sub_f16_e32 v28, v28, v26
	global_store_dword v[0:1], v2, off offset:312
	v_pack_b32_f16 v2, v14, v31
	v_fma_f16 v26, v26, 2.0, v28
	global_store_dword v[0:1], v2, off offset:468
	v_pack_b32_f16 v2, v28, v8
	global_store_dword v[0:1], v2, off offset:624
	v_pack_b32_f16 v2, v26, v9
	v_fma_f16 v35, v35, 2.0, v34
	v_fma_f16 v36, v36, -2.0, v37
	global_store_dword v[0:1], v2, off offset:780
	v_pack_b32_f16 v2, v30, v33
	v_fma_f16 v16, v16, 2.0, v7
	v_fma_f16 v10, v10, -2.0, v11
	global_store_dword v[0:1], v2, off offset:936
	v_pack_b32_f16 v2, v35, v36
	global_store_dword v[0:1], v2, off offset:1092
	v_pack_b32_f16 v2, v16, v10
	global_store_dword v[0:1], v2, off offset:1248
.LBB0_16:
	s_endpgm
	.section	.rodata,"a",@progbits
	.p2align	6, 0x0
	.amdhsa_kernel fft_rtc_back_len351_factors_13_3_9_wgs_117_tpt_39_half_op_CI_CI_unitstride_sbrr_dirReg
		.amdhsa_group_segment_fixed_size 0
		.amdhsa_private_segment_fixed_size 0
		.amdhsa_kernarg_size 104
		.amdhsa_user_sgpr_count 6
		.amdhsa_user_sgpr_private_segment_buffer 1
		.amdhsa_user_sgpr_dispatch_ptr 0
		.amdhsa_user_sgpr_queue_ptr 0
		.amdhsa_user_sgpr_kernarg_segment_ptr 1
		.amdhsa_user_sgpr_dispatch_id 0
		.amdhsa_user_sgpr_flat_scratch_init 0
		.amdhsa_user_sgpr_private_segment_size 0
		.amdhsa_uses_dynamic_stack 0
		.amdhsa_system_sgpr_private_segment_wavefront_offset 0
		.amdhsa_system_sgpr_workgroup_id_x 1
		.amdhsa_system_sgpr_workgroup_id_y 0
		.amdhsa_system_sgpr_workgroup_id_z 0
		.amdhsa_system_sgpr_workgroup_info 0
		.amdhsa_system_vgpr_workitem_id 0
		.amdhsa_next_free_vgpr 108
		.amdhsa_next_free_sgpr 28
		.amdhsa_reserve_vcc 1
		.amdhsa_reserve_flat_scratch 0
		.amdhsa_float_round_mode_32 0
		.amdhsa_float_round_mode_16_64 0
		.amdhsa_float_denorm_mode_32 3
		.amdhsa_float_denorm_mode_16_64 3
		.amdhsa_dx10_clamp 1
		.amdhsa_ieee_mode 1
		.amdhsa_fp16_overflow 0
		.amdhsa_exception_fp_ieee_invalid_op 0
		.amdhsa_exception_fp_denorm_src 0
		.amdhsa_exception_fp_ieee_div_zero 0
		.amdhsa_exception_fp_ieee_overflow 0
		.amdhsa_exception_fp_ieee_underflow 0
		.amdhsa_exception_fp_ieee_inexact 0
		.amdhsa_exception_int_div_zero 0
	.end_amdhsa_kernel
	.text
.Lfunc_end0:
	.size	fft_rtc_back_len351_factors_13_3_9_wgs_117_tpt_39_half_op_CI_CI_unitstride_sbrr_dirReg, .Lfunc_end0-fft_rtc_back_len351_factors_13_3_9_wgs_117_tpt_39_half_op_CI_CI_unitstride_sbrr_dirReg
                                        ; -- End function
	.section	.AMDGPU.csdata,"",@progbits
; Kernel info:
; codeLenInByte = 6476
; NumSgprs: 32
; NumVgprs: 108
; ScratchSize: 0
; MemoryBound: 0
; FloatMode: 240
; IeeeMode: 1
; LDSByteSize: 0 bytes/workgroup (compile time only)
; SGPRBlocks: 3
; VGPRBlocks: 26
; NumSGPRsForWavesPerEU: 32
; NumVGPRsForWavesPerEU: 108
; Occupancy: 2
; WaveLimiterHint : 1
; COMPUTE_PGM_RSRC2:SCRATCH_EN: 0
; COMPUTE_PGM_RSRC2:USER_SGPR: 6
; COMPUTE_PGM_RSRC2:TRAP_HANDLER: 0
; COMPUTE_PGM_RSRC2:TGID_X_EN: 1
; COMPUTE_PGM_RSRC2:TGID_Y_EN: 0
; COMPUTE_PGM_RSRC2:TGID_Z_EN: 0
; COMPUTE_PGM_RSRC2:TIDIG_COMP_CNT: 0
	.type	__hip_cuid_f6eacf442ea89e8c,@object ; @__hip_cuid_f6eacf442ea89e8c
	.section	.bss,"aw",@nobits
	.globl	__hip_cuid_f6eacf442ea89e8c
__hip_cuid_f6eacf442ea89e8c:
	.byte	0                               ; 0x0
	.size	__hip_cuid_f6eacf442ea89e8c, 1

	.ident	"AMD clang version 19.0.0git (https://github.com/RadeonOpenCompute/llvm-project roc-6.4.0 25133 c7fe45cf4b819c5991fe208aaa96edf142730f1d)"
	.section	".note.GNU-stack","",@progbits
	.addrsig
	.addrsig_sym __hip_cuid_f6eacf442ea89e8c
	.amdgpu_metadata
---
amdhsa.kernels:
  - .args:
      - .actual_access:  read_only
        .address_space:  global
        .offset:         0
        .size:           8
        .value_kind:     global_buffer
      - .offset:         8
        .size:           8
        .value_kind:     by_value
      - .actual_access:  read_only
        .address_space:  global
        .offset:         16
        .size:           8
        .value_kind:     global_buffer
      - .actual_access:  read_only
        .address_space:  global
        .offset:         24
        .size:           8
        .value_kind:     global_buffer
      - .actual_access:  read_only
        .address_space:  global
        .offset:         32
        .size:           8
        .value_kind:     global_buffer
      - .offset:         40
        .size:           8
        .value_kind:     by_value
      - .actual_access:  read_only
        .address_space:  global
        .offset:         48
        .size:           8
        .value_kind:     global_buffer
      - .actual_access:  read_only
        .address_space:  global
        .offset:         56
        .size:           8
        .value_kind:     global_buffer
      - .offset:         64
        .size:           4
        .value_kind:     by_value
      - .actual_access:  read_only
        .address_space:  global
        .offset:         72
        .size:           8
        .value_kind:     global_buffer
      - .actual_access:  read_only
        .address_space:  global
        .offset:         80
        .size:           8
        .value_kind:     global_buffer
      - .actual_access:  read_only
        .address_space:  global
        .offset:         88
        .size:           8
        .value_kind:     global_buffer
      - .actual_access:  write_only
        .address_space:  global
        .offset:         96
        .size:           8
        .value_kind:     global_buffer
    .group_segment_fixed_size: 0
    .kernarg_segment_align: 8
    .kernarg_segment_size: 104
    .language:       OpenCL C
    .language_version:
      - 2
      - 0
    .max_flat_workgroup_size: 117
    .name:           fft_rtc_back_len351_factors_13_3_9_wgs_117_tpt_39_half_op_CI_CI_unitstride_sbrr_dirReg
    .private_segment_fixed_size: 0
    .sgpr_count:     32
    .sgpr_spill_count: 0
    .symbol:         fft_rtc_back_len351_factors_13_3_9_wgs_117_tpt_39_half_op_CI_CI_unitstride_sbrr_dirReg.kd
    .uniform_work_group_size: 1
    .uses_dynamic_stack: false
    .vgpr_count:     108
    .vgpr_spill_count: 0
    .wavefront_size: 64
amdhsa.target:   amdgcn-amd-amdhsa--gfx906
amdhsa.version:
  - 1
  - 2
...

	.end_amdgpu_metadata
